;; amdgpu-corpus repo=ROCm/rocFFT kind=compiled arch=gfx1030 opt=O3
	.text
	.amdgcn_target "amdgcn-amd-amdhsa--gfx1030"
	.amdhsa_code_object_version 6
	.protected	fft_rtc_back_len624_factors_13_4_6_2_wgs_52_tpt_52_half_op_CI_CI_unitstride_sbrr_R2C_dirReg ; -- Begin function fft_rtc_back_len624_factors_13_4_6_2_wgs_52_tpt_52_half_op_CI_CI_unitstride_sbrr_R2C_dirReg
	.globl	fft_rtc_back_len624_factors_13_4_6_2_wgs_52_tpt_52_half_op_CI_CI_unitstride_sbrr_R2C_dirReg
	.p2align	8
	.type	fft_rtc_back_len624_factors_13_4_6_2_wgs_52_tpt_52_half_op_CI_CI_unitstride_sbrr_R2C_dirReg,@function
fft_rtc_back_len624_factors_13_4_6_2_wgs_52_tpt_52_half_op_CI_CI_unitstride_sbrr_R2C_dirReg: ; @fft_rtc_back_len624_factors_13_4_6_2_wgs_52_tpt_52_half_op_CI_CI_unitstride_sbrr_R2C_dirReg
; %bb.0:
	s_clause 0x2
	s_load_dwordx4 s[12:15], s[4:5], 0x0
	s_load_dwordx4 s[8:11], s[4:5], 0x58
	;; [unrolled: 1-line block ×3, first 2 shown]
	v_mul_u32_u24_e32 v1, 0x4ed, v0
	v_mov_b32_e32 v3, 0
	v_mov_b32_e32 v7, 0
	;; [unrolled: 1-line block ×3, first 2 shown]
	v_add_nc_u32_sdwa v9, s6, v1 dst_sel:DWORD dst_unused:UNUSED_PAD src0_sel:DWORD src1_sel:WORD_1
	v_mov_b32_e32 v10, v3
	s_waitcnt lgkmcnt(0)
	v_cmp_lt_u64_e64 s0, s[14:15], 2
	s_and_b32 vcc_lo, exec_lo, s0
	s_cbranch_vccnz .LBB0_8
; %bb.1:
	s_load_dwordx2 s[0:1], s[4:5], 0x10
	v_mov_b32_e32 v7, 0
	v_mov_b32_e32 v8, 0
	s_add_u32 s2, s18, 8
	s_addc_u32 s3, s19, 0
	v_mov_b32_e32 v1, v7
	s_add_u32 s6, s16, 8
	v_mov_b32_e32 v2, v8
	s_addc_u32 s7, s17, 0
	s_mov_b64 s[22:23], 1
	s_waitcnt lgkmcnt(0)
	s_add_u32 s20, s0, 8
	s_addc_u32 s21, s1, 0
.LBB0_2:                                ; =>This Inner Loop Header: Depth=1
	s_load_dwordx2 s[24:25], s[20:21], 0x0
                                        ; implicit-def: $vgpr5_vgpr6
	s_mov_b32 s0, exec_lo
	s_waitcnt lgkmcnt(0)
	v_or_b32_e32 v4, s25, v10
	v_cmpx_ne_u64_e32 0, v[3:4]
	s_xor_b32 s1, exec_lo, s0
	s_cbranch_execz .LBB0_4
; %bb.3:                                ;   in Loop: Header=BB0_2 Depth=1
	v_cvt_f32_u32_e32 v4, s24
	v_cvt_f32_u32_e32 v5, s25
	s_sub_u32 s0, 0, s24
	s_subb_u32 s26, 0, s25
	v_fmac_f32_e32 v4, 0x4f800000, v5
	v_rcp_f32_e32 v4, v4
	v_mul_f32_e32 v4, 0x5f7ffffc, v4
	v_mul_f32_e32 v5, 0x2f800000, v4
	v_trunc_f32_e32 v5, v5
	v_fmac_f32_e32 v4, 0xcf800000, v5
	v_cvt_u32_f32_e32 v5, v5
	v_cvt_u32_f32_e32 v4, v4
	v_mul_lo_u32 v6, s0, v5
	v_mul_hi_u32 v11, s0, v4
	v_mul_lo_u32 v12, s26, v4
	v_add_nc_u32_e32 v6, v11, v6
	v_mul_lo_u32 v11, s0, v4
	v_add_nc_u32_e32 v6, v6, v12
	v_mul_hi_u32 v12, v4, v11
	v_mul_lo_u32 v13, v4, v6
	v_mul_hi_u32 v14, v4, v6
	v_mul_hi_u32 v15, v5, v11
	v_mul_lo_u32 v11, v5, v11
	v_mul_hi_u32 v16, v5, v6
	v_mul_lo_u32 v6, v5, v6
	v_add_co_u32 v12, vcc_lo, v12, v13
	v_add_co_ci_u32_e32 v13, vcc_lo, 0, v14, vcc_lo
	v_add_co_u32 v11, vcc_lo, v12, v11
	v_add_co_ci_u32_e32 v11, vcc_lo, v13, v15, vcc_lo
	v_add_co_ci_u32_e32 v12, vcc_lo, 0, v16, vcc_lo
	v_add_co_u32 v6, vcc_lo, v11, v6
	v_add_co_ci_u32_e32 v11, vcc_lo, 0, v12, vcc_lo
	v_add_co_u32 v4, vcc_lo, v4, v6
	v_add_co_ci_u32_e32 v5, vcc_lo, v5, v11, vcc_lo
	v_mul_hi_u32 v6, s0, v4
	v_mul_lo_u32 v12, s26, v4
	v_mul_lo_u32 v11, s0, v5
	v_add_nc_u32_e32 v6, v6, v11
	v_mul_lo_u32 v11, s0, v4
	v_add_nc_u32_e32 v6, v6, v12
	v_mul_hi_u32 v12, v4, v11
	v_mul_lo_u32 v13, v4, v6
	v_mul_hi_u32 v14, v4, v6
	v_mul_hi_u32 v15, v5, v11
	v_mul_lo_u32 v11, v5, v11
	v_mul_hi_u32 v16, v5, v6
	v_mul_lo_u32 v6, v5, v6
	v_add_co_u32 v12, vcc_lo, v12, v13
	v_add_co_ci_u32_e32 v13, vcc_lo, 0, v14, vcc_lo
	v_add_co_u32 v11, vcc_lo, v12, v11
	v_add_co_ci_u32_e32 v11, vcc_lo, v13, v15, vcc_lo
	v_add_co_ci_u32_e32 v12, vcc_lo, 0, v16, vcc_lo
	v_add_co_u32 v6, vcc_lo, v11, v6
	v_add_co_ci_u32_e32 v11, vcc_lo, 0, v12, vcc_lo
	v_add_co_u32 v6, vcc_lo, v4, v6
	v_add_co_ci_u32_e32 v13, vcc_lo, v5, v11, vcc_lo
	v_mul_hi_u32 v15, v9, v6
	v_mad_u64_u32 v[11:12], null, v10, v6, 0
	v_mad_u64_u32 v[4:5], null, v9, v13, 0
	;; [unrolled: 1-line block ×3, first 2 shown]
	v_add_co_u32 v4, vcc_lo, v15, v4
	v_add_co_ci_u32_e32 v5, vcc_lo, 0, v5, vcc_lo
	v_add_co_u32 v4, vcc_lo, v4, v11
	v_add_co_ci_u32_e32 v4, vcc_lo, v5, v12, vcc_lo
	v_add_co_ci_u32_e32 v5, vcc_lo, 0, v14, vcc_lo
	v_add_co_u32 v11, vcc_lo, v4, v13
	v_add_co_ci_u32_e32 v6, vcc_lo, 0, v5, vcc_lo
	v_mul_lo_u32 v12, s25, v11
	v_mad_u64_u32 v[4:5], null, s24, v11, 0
	v_mul_lo_u32 v13, s24, v6
	v_sub_co_u32 v4, vcc_lo, v9, v4
	v_add3_u32 v5, v5, v13, v12
	v_sub_nc_u32_e32 v12, v10, v5
	v_subrev_co_ci_u32_e64 v12, s0, s25, v12, vcc_lo
	v_add_co_u32 v13, s0, v11, 2
	v_add_co_ci_u32_e64 v14, s0, 0, v6, s0
	v_sub_co_u32 v15, s0, v4, s24
	v_sub_co_ci_u32_e32 v5, vcc_lo, v10, v5, vcc_lo
	v_subrev_co_ci_u32_e64 v12, s0, 0, v12, s0
	v_cmp_le_u32_e32 vcc_lo, s24, v15
	v_cmp_eq_u32_e64 s0, s25, v5
	v_cndmask_b32_e64 v15, 0, -1, vcc_lo
	v_cmp_le_u32_e32 vcc_lo, s25, v12
	v_cndmask_b32_e64 v16, 0, -1, vcc_lo
	v_cmp_le_u32_e32 vcc_lo, s24, v4
	;; [unrolled: 2-line block ×3, first 2 shown]
	v_cndmask_b32_e64 v17, 0, -1, vcc_lo
	v_cmp_eq_u32_e32 vcc_lo, s25, v12
	v_cndmask_b32_e64 v4, v17, v4, s0
	v_cndmask_b32_e32 v12, v16, v15, vcc_lo
	v_add_co_u32 v15, vcc_lo, v11, 1
	v_add_co_ci_u32_e32 v16, vcc_lo, 0, v6, vcc_lo
	v_cmp_ne_u32_e32 vcc_lo, 0, v12
	v_cndmask_b32_e32 v5, v16, v14, vcc_lo
	v_cndmask_b32_e32 v12, v15, v13, vcc_lo
	v_cmp_ne_u32_e32 vcc_lo, 0, v4
	v_cndmask_b32_e32 v6, v6, v5, vcc_lo
	v_cndmask_b32_e32 v5, v11, v12, vcc_lo
.LBB0_4:                                ;   in Loop: Header=BB0_2 Depth=1
	s_andn2_saveexec_b32 s0, s1
	s_cbranch_execz .LBB0_6
; %bb.5:                                ;   in Loop: Header=BB0_2 Depth=1
	v_cvt_f32_u32_e32 v4, s24
	s_sub_i32 s1, 0, s24
	v_rcp_iflag_f32_e32 v4, v4
	v_mul_f32_e32 v4, 0x4f7ffffe, v4
	v_cvt_u32_f32_e32 v4, v4
	v_mul_lo_u32 v5, s1, v4
	v_mul_hi_u32 v5, v4, v5
	v_add_nc_u32_e32 v4, v4, v5
	v_mul_hi_u32 v4, v9, v4
	v_mul_lo_u32 v5, v4, s24
	v_add_nc_u32_e32 v6, 1, v4
	v_sub_nc_u32_e32 v5, v9, v5
	v_subrev_nc_u32_e32 v11, s24, v5
	v_cmp_le_u32_e32 vcc_lo, s24, v5
	v_cndmask_b32_e32 v5, v5, v11, vcc_lo
	v_cndmask_b32_e32 v4, v4, v6, vcc_lo
	v_cmp_le_u32_e32 vcc_lo, s24, v5
	v_add_nc_u32_e32 v6, 1, v4
	v_cndmask_b32_e32 v5, v4, v6, vcc_lo
	v_mov_b32_e32 v6, v3
.LBB0_6:                                ;   in Loop: Header=BB0_2 Depth=1
	s_or_b32 exec_lo, exec_lo, s0
	v_mul_lo_u32 v4, v6, s24
	v_mul_lo_u32 v13, v5, s25
	s_load_dwordx2 s[0:1], s[6:7], 0x0
	v_mad_u64_u32 v[11:12], null, v5, s24, 0
	s_load_dwordx2 s[24:25], s[2:3], 0x0
	s_add_u32 s22, s22, 1
	s_addc_u32 s23, s23, 0
	s_add_u32 s2, s2, 8
	s_addc_u32 s3, s3, 0
	s_add_u32 s6, s6, 8
	v_add3_u32 v4, v12, v13, v4
	v_sub_co_u32 v9, vcc_lo, v9, v11
	s_addc_u32 s7, s7, 0
	s_add_u32 s20, s20, 8
	v_sub_co_ci_u32_e32 v4, vcc_lo, v10, v4, vcc_lo
	s_addc_u32 s21, s21, 0
	s_waitcnt lgkmcnt(0)
	v_mul_lo_u32 v10, s0, v4
	v_mul_lo_u32 v11, s1, v9
	v_mad_u64_u32 v[7:8], null, s0, v9, v[7:8]
	v_mul_lo_u32 v4, s24, v4
	v_mul_lo_u32 v12, s25, v9
	v_mad_u64_u32 v[1:2], null, s24, v9, v[1:2]
	v_cmp_ge_u64_e64 s0, s[22:23], s[14:15]
	v_add3_u32 v8, v11, v8, v10
	v_add3_u32 v2, v12, v2, v4
	s_and_b32 vcc_lo, exec_lo, s0
	s_cbranch_vccnz .LBB0_9
; %bb.7:                                ;   in Loop: Header=BB0_2 Depth=1
	v_mov_b32_e32 v10, v6
	v_mov_b32_e32 v9, v5
	s_branch .LBB0_2
.LBB0_8:
	v_mov_b32_e32 v1, v7
	v_mov_b32_e32 v5, v9
	;; [unrolled: 1-line block ×4, first 2 shown]
.LBB0_9:
	s_load_dwordx2 s[0:1], s[4:5], 0x28
	v_mul_hi_u32 v4, 0x4ec4ec5, v0
	s_lshl_b64 s[4:5], s[14:15], 3
                                        ; implicit-def: $vgpr3
	s_add_u32 s2, s18, s4
	s_addc_u32 s3, s19, s5
	s_waitcnt lgkmcnt(0)
	v_cmp_gt_u64_e32 vcc_lo, s[0:1], v[5:6]
	v_cmp_le_u64_e64 s0, s[0:1], v[5:6]
	s_and_saveexec_b32 s1, s0
	s_xor_b32 s0, exec_lo, s1
; %bb.10:
	v_mul_u32_u24_e32 v3, 52, v4
                                        ; implicit-def: $vgpr4
                                        ; implicit-def: $vgpr7_vgpr8
	v_sub_nc_u32_e32 v3, v0, v3
                                        ; implicit-def: $vgpr0
; %bb.11:
	s_andn2_saveexec_b32 s1, s0
	s_cbranch_execz .LBB0_13
; %bb.12:
	s_add_u32 s4, s16, s4
	s_addc_u32 s5, s17, s5
	v_lshlrev_b64 v[7:8], 2, v[7:8]
	s_load_dwordx2 s[4:5], s[4:5], 0x0
	s_waitcnt lgkmcnt(0)
	v_mul_lo_u32 v3, s5, v5
	v_mul_lo_u32 v11, s4, v6
	v_mad_u64_u32 v[9:10], null, s4, v5, 0
	v_add3_u32 v10, v10, v11, v3
	v_mul_u32_u24_e32 v3, 52, v4
	v_lshlrev_b64 v[9:10], 2, v[9:10]
	v_sub_nc_u32_e32 v3, v0, v3
	v_lshlrev_b32_e32 v11, 2, v3
	v_add_co_u32 v0, s0, s8, v9
	v_add_co_ci_u32_e64 v4, s0, s9, v10, s0
	v_add_co_u32 v0, s0, v0, v7
	v_add_co_ci_u32_e64 v4, s0, v4, v8, s0
	;; [unrolled: 2-line block ×4, first 2 shown]
	s_clause 0xb
	global_load_dword v0, v[7:8], off
	global_load_dword v4, v[7:8], off offset:208
	global_load_dword v12, v[7:8], off offset:416
	;; [unrolled: 1-line block ×11, first 2 shown]
	v_add_nc_u32_e32 v10, 0, v11
	v_add_nc_u32_e32 v11, 0x200, v10
	;; [unrolled: 1-line block ×3, first 2 shown]
	s_waitcnt vmcnt(10)
	ds_write2_b32 v10, v0, v4 offset1:52
	v_add_nc_u32_e32 v0, 0x800, v10
	s_waitcnt vmcnt(8)
	ds_write2_b32 v10, v12, v13 offset0:104 offset1:156
	s_waitcnt vmcnt(6)
	ds_write2_b32 v11, v14, v15 offset0:80 offset1:132
	;; [unrolled: 2-line block ×5, first 2 shown]
.LBB0_13:
	s_or_b32 exec_lo, exec_lo, s1
	v_lshl_add_u32 v0, v3, 2, 0
	s_waitcnt lgkmcnt(0)
	s_barrier
	buffer_gl0_inv
	s_mov_b32 s1, exec_lo
	v_add_nc_u32_e32 v19, 0x400, v0
	v_add_nc_u32_e32 v4, 0x600, v0
	ds_read2_b32 v[7:8], v0 offset1:48
	ds_read2_b32 v[17:18], v0 offset0:96 offset1:144
	ds_read2_b32 v[15:16], v0 offset0:192 offset1:240
	;; [unrolled: 1-line block ×5, first 2 shown]
	ds_read_b32 v28, v0 offset:2304
	s_waitcnt lgkmcnt(0)
	s_barrier
	buffer_gl0_inv
	v_cmpx_gt_u32_e32 48, v3
	s_cbranch_execz .LBB0_15
; %bb.14:
	v_pk_add_f16 v4, v7, v8
	v_pk_add_f16 v22, v8, v28 neg_lo:[0,1] neg_hi:[0,1]
	v_pk_add_f16 v27, v28, v8
	v_pk_add_f16 v23, v12, v15
	v_pk_add_f16 v20, v17, v10 neg_lo:[0,1] neg_hi:[0,1]
	v_pk_add_f16 v8, v4, v17
	v_pk_add_f16 v4, v15, v12 neg_lo:[0,1] neg_hi:[0,1]
	;; [unrolled: 2-line block ×3, first 2 shown]
	v_pk_add_f16 v26, v9, v18
	v_pk_add_f16 v29, v8, v18
	v_pk_add_f16 v8, v16, v11 neg_lo:[0,1] neg_hi:[0,1]
	v_pk_add_f16 v24, v11, v16
	v_pk_add_f16 v17, v13, v14 neg_lo:[0,1] neg_hi:[0,1]
	v_pk_add_f16 v18, v14, v13
	v_pk_add_f16 v15, v29, v15
	v_lshrrev_b32_e32 v33, 16, v27
	v_mul_f16_e32 v34, 0xbb7b, v20
	v_lshrrev_b32_e32 v35, 16, v25
	v_mov_b32_e32 v29, 0xba95
	v_pk_add_f16 v15, v15, v16
	v_mul_f16_e32 v16, 0xba95, v22
	v_lshrrev_b32_e32 v36, 16, v26
	v_fmamk_f16 v42, v35, 0xb5ac, v34
	v_mov_b32_e32 v30, 0xbb7b
	v_pk_add_f16 v13, v15, v13
	v_fmamk_f16 v40, v33, 0x388b, v16
	v_mul_f16_e32 v15, 0xb3a8, v21
	v_mul_f16_e32 v37, 0x394e, v4
	v_lshrrev_b32_e32 v38, 16, v23
	v_pk_add_f16 v13, v13, v14
	v_add_f16_sdwa v40, v7, v40 dst_sel:DWORD dst_unused:UNUSED_PAD src0_sel:WORD_1 src1_sel:DWORD
	v_mul_f16_sdwa v43, v22, v29 dst_sel:DWORD dst_unused:UNUSED_PAD src0_sel:WORD_1 src1_sel:DWORD
	v_fmamk_f16 v44, v36, 0xbbc4, v15
	v_mov_b32_e32 v31, 0xb3a8
	v_pk_add_f16 v11, v13, v11
	v_add_f16_e32 v40, v42, v40
	v_mul_f16_e32 v14, 0x3bf1, v8
	v_lshrrev_b32_e32 v39, 16, v24
	v_fma_f16 v42, v27, 0x388b, -v43
	v_pk_add_f16 v11, v11, v12
	v_mul_f16_sdwa v12, v20, v30 dst_sel:DWORD dst_unused:UNUSED_PAD src0_sel:WORD_1 src1_sel:DWORD
	v_add_f16_e32 v40, v44, v40
	v_mul_f16_e32 v41, 0x3770, v17
	v_lshrrev_b32_e32 v13, 16, v18
	v_pk_add_f16 v9, v11, v9
	v_fmamk_f16 v11, v38, 0xb9fd, v37
	v_fma_f16 v45, v25, 0xb5ac, -v12
	v_add_f16_e32 v42, v7, v42
	v_fmamk_f16 v44, v39, 0x2fb7, v14
	v_pk_add_f16 v9, v9, v10
	v_mul_f16_sdwa v10, v21, v31 dst_sel:DWORD dst_unused:UNUSED_PAD src0_sel:WORD_1 src1_sel:DWORD
	v_add_f16_e32 v11, v11, v40
	v_mov_b32_e32 v32, 0x394e
	v_add_f16_e32 v40, v45, v42
	v_pk_add_f16 v28, v9, v28
	v_fma_f16 v9, v26, 0xbbc4, -v10
	v_add_f16_e32 v11, v44, v11
	v_fmamk_f16 v44, v13, 0x3b15, v41
	v_mul_f16_e32 v45, 0xbbf1, v22
	v_mul_f16_sdwa v42, v4, v32 dst_sel:DWORD dst_unused:UNUSED_PAD src0_sel:WORD_1 src1_sel:DWORD
	v_add_f16_e32 v40, v9, v40
	v_mov_b32_e32 v47, 0x3bf1
	v_add_f16_e32 v9, v44, v11
	v_fmamk_f16 v11, v33, 0x2fb7, v45
	v_mul_f16_e32 v44, 0xb3a8, v20
	v_fma_f16 v46, v23, 0xb9fd, -v42
	v_mul_f16_e32 v50, 0x3b7b, v21
	v_mov_b32_e32 v51, 0xbbf1
	v_add_f16_sdwa v11, v7, v11 dst_sel:DWORD dst_unused:UNUSED_PAD src0_sel:WORD_1 src1_sel:DWORD
	v_fmamk_f16 v49, v35, 0xbbc4, v44
	v_add_f16_e32 v40, v46, v40
	v_mul_f16_sdwa v46, v8, v47 dst_sel:DWORD dst_unused:UNUSED_PAD src0_sel:WORD_1 src1_sel:DWORD
	v_mov_b32_e32 v48, 0x3770
	v_mul_f16_sdwa v54, v22, v51 dst_sel:DWORD dst_unused:UNUSED_PAD src0_sel:WORD_1 src1_sel:DWORD
	v_add_f16_e32 v11, v49, v11
	v_fmamk_f16 v49, v36, 0xb5ac, v50
	v_fma_f16 v52, v24, 0x2fb7, -v46
	v_mul_f16_sdwa v53, v17, v48 dst_sel:DWORD dst_unused:UNUSED_PAD src0_sel:WORD_1 src1_sel:DWORD
	v_mul_f16_sdwa v31, v20, v31 dst_sel:DWORD dst_unused:UNUSED_PAD src0_sel:WORD_1 src1_sel:DWORD
	v_mov_b32_e32 v56, 0x3b7b
	v_add_f16_e32 v11, v49, v11
	v_fma_f16 v49, v27, 0x2fb7, -v54
	v_add_f16_e32 v40, v52, v40
	v_fma_f16 v52, v18, 0x3b15, -v53
	v_fma_f16 v59, v25, 0xbbc4, -v31
	v_mul_f16_sdwa v56, v21, v56 dst_sel:DWORD dst_unused:UNUSED_PAD src0_sel:WORD_1 src1_sel:DWORD
	v_add_f16_e32 v49, v7, v49
	v_mul_f16_e32 v61, 0xbb7b, v22
	v_add_f16_e32 v40, v52, v40
	v_mul_f16_e32 v63, 0x394e, v20
	v_mul_f16_e32 v64, 0x3770, v21
	v_add_f16_e32 v49, v59, v49
	v_fma_f16 v59, v26, 0xb5ac, -v56
	v_fmamk_f16 v52, v33, 0xb5ac, v61
	v_mul_f16_e32 v68, 0xbbf1, v4
	v_mul_f16_e32 v71, 0x33a8, v8
	v_mul_f16_sdwa v62, v4, v48 dst_sel:DWORD dst_unused:UNUSED_PAD src0_sel:WORD_1 src1_sel:DWORD
	v_add_f16_e32 v49, v59, v49
	v_add_f16_sdwa v52, v7, v52 dst_sel:DWORD dst_unused:UNUSED_PAD src0_sel:WORD_1 src1_sel:DWORD
	v_fmamk_f16 v59, v35, 0xb9fd, v63
	v_fmamk_f16 v73, v39, 0xbbc4, v71
	v_mul_f16_e32 v74, 0x3a95, v17
	v_mul_f16_e32 v55, 0x3770, v4
	v_fma_f16 v65, v23, 0x3b15, -v62
	v_add_f16_e32 v52, v59, v52
	v_fmamk_f16 v59, v36, 0x3b15, v64
	v_mul_f16_sdwa v66, v8, v29 dst_sel:DWORD dst_unused:UNUSED_PAD src0_sel:WORD_1 src1_sel:DWORD
	v_mov_b32_e32 v67, 0xb94e
	v_fmamk_f16 v76, v13, 0x388b, v74
	v_mul_f16_e32 v78, 0x3bf1, v20
	v_add_f16_e32 v52, v59, v52
	v_fmamk_f16 v59, v38, 0x2fb7, v68
	v_fma_f16 v45, v33, 0x2fb7, -v45
	v_fmamk_f16 v57, v38, 0x3b15, v55
	v_mul_f16_e32 v58, 0xba95, v8
	v_add_f16_e32 v49, v65, v49
	v_add_f16_e32 v52, v59, v52
	v_fma_f16 v65, v24, 0x388b, -v66
	v_mul_f16_sdwa v69, v17, v67 dst_sel:DWORD dst_unused:UNUSED_PAD src0_sel:WORD_1 src1_sel:DWORD
	v_mul_f16_e32 v79, 0xba95, v21
	v_mul_f16_sdwa v67, v22, v67 dst_sel:DWORD dst_unused:UNUSED_PAD src0_sel:WORD_1 src1_sel:DWORD
	v_add_f16_e32 v52, v73, v52
	v_mul_f16_e32 v73, 0xb94e, v22
	v_add_f16_sdwa v45, v7, v45 dst_sel:DWORD dst_unused:UNUSED_PAD src0_sel:WORD_1 src1_sel:DWORD
	v_fma_f16 v44, v35, 0xbbc4, -v44
	v_add_f16_e32 v11, v57, v11
	v_add_f16_e32 v52, v76, v52
	v_fmamk_f16 v77, v33, 0xb9fd, v73
	v_fmamk_f16 v57, v39, 0x388b, v58
	v_mul_f16_e32 v60, 0xb94e, v17
	v_add_f16_e32 v49, v65, v49
	v_fma_f16 v65, v18, 0xb9fd, -v69
	v_add_f16_sdwa v76, v7, v77 dst_sel:DWORD dst_unused:UNUSED_PAD src0_sel:WORD_1 src1_sel:DWORD
	v_fmamk_f16 v77, v35, 0x2fb7, v78
	v_mul_f16_e32 v80, 0x33a8, v4
	v_fma_f16 v81, v27, 0xb9fd, -v67
	v_mul_f16_sdwa v47, v20, v47 dst_sel:DWORD dst_unused:UNUSED_PAD src0_sel:WORD_1 src1_sel:DWORD
	v_fmac_f16_e32 v67, 0xb9fd, v27
	v_add_f16_e32 v76, v77, v76
	v_fmamk_f16 v77, v36, 0x388b, v79
	v_fma_f16 v16, v33, 0x388b, -v16
	v_add_f16_e32 v44, v44, v45
	v_fma_f16 v45, v36, 0xb5ac, -v50
	v_add_f16_e32 v11, v57, v11
	v_fmamk_f16 v57, v13, 0xb9fd, v60
	v_mul_f16_sdwa v70, v22, v30 dst_sel:DWORD dst_unused:UNUSED_PAD src0_sel:WORD_1 src1_sel:DWORD
	v_add_f16_e32 v49, v65, v49
	v_mov_b32_e32 v65, 0x33a8
	v_add_f16_e32 v76, v77, v76
	v_fmamk_f16 v77, v38, 0xbbc4, v80
	v_mul_f16_e32 v82, 0x3770, v8
	v_add_f16_e32 v81, v7, v81
	v_fma_f16 v83, v25, 0x2fb7, -v47
	v_mul_f16_sdwa v29, v21, v29 dst_sel:DWORD dst_unused:UNUSED_PAD src0_sel:WORD_1 src1_sel:DWORD
	v_fma_f16 v78, v35, 0x2fb7, -v78
	v_add_f16_e32 v67, v7, v67
	v_fmac_f16_e32 v47, 0x2fb7, v25
	v_fma_f16 v61, v33, 0xb5ac, -v61
	v_fma_f16 v63, v35, 0xb9fd, -v63
	v_add_f16_sdwa v16, v7, v16 dst_sel:DWORD dst_unused:UNUSED_PAD src0_sel:WORD_1 src1_sel:DWORD
	v_fma_f16 v34, v35, 0xb5ac, -v34
	v_add_f16_e32 v35, v45, v44
	v_fma_f16 v44, v38, 0x3b15, -v55
	v_add_f16_e32 v11, v57, v11
	v_fma_f16 v57, v27, 0xb5ac, -v70
	v_mul_f16_sdwa v32, v20, v32 dst_sel:DWORD dst_unused:UNUSED_PAD src0_sel:WORD_1 src1_sel:DWORD
	v_mul_f16_sdwa v75, v8, v65 dst_sel:DWORD dst_unused:UNUSED_PAD src0_sel:WORD_1 src1_sel:DWORD
	v_add_f16_e32 v76, v77, v76
	v_fmamk_f16 v77, v39, 0x3b15, v82
	v_add_f16_e32 v81, v83, v81
	v_fma_f16 v83, v26, 0x388b, -v29
	v_mul_f16_sdwa v65, v4, v65 dst_sel:DWORD dst_unused:UNUSED_PAD src0_sel:WORD_1 src1_sel:DWORD
	v_fma_f16 v73, v33, 0xb9fd, -v73
	v_add_f16_e32 v47, v47, v67
	v_fmac_f16_e32 v29, 0x388b, v26
	v_fmac_f16_e32 v70, 0xb5ac, v27
	v_add_f16_sdwa v61, v7, v61 dst_sel:DWORD dst_unused:UNUSED_PAD src0_sel:WORD_1 src1_sel:DWORD
	v_add_f16_e32 v16, v34, v16
	v_fma_f16 v15, v36, 0xbbc4, -v15
	v_add_f16_e32 v34, v44, v35
	v_fma_f16 v35, v39, 0x388b, -v58
	v_fma_f16 v59, v25, 0xb9fd, -v32
	v_mul_f16_sdwa v72, v21, v48 dst_sel:DWORD dst_unused:UNUSED_PAD src0_sel:WORD_1 src1_sel:DWORD
	v_add_f16_e32 v76, v77, v76
	v_add_f16_e32 v77, v83, v81
	v_fma_f16 v81, v23, 0xbbc4, -v65
	v_mul_f16_sdwa v48, v8, v48 dst_sel:DWORD dst_unused:UNUSED_PAD src0_sel:WORD_1 src1_sel:DWORD
	v_add_f16_sdwa v73, v7, v73 dst_sel:DWORD dst_unused:UNUSED_PAD src0_sel:WORD_1 src1_sel:DWORD
	v_add_f16_e32 v29, v29, v47
	v_add_f16_e32 v47, v7, v70
	v_fmac_f16_e32 v32, 0xb9fd, v25
	v_fmac_f16_e32 v65, 0xbbc4, v23
	v_add_f16_e32 v61, v63, v61
	v_fma_f16 v63, v36, 0x3b15, -v64
	v_add_f16_e32 v15, v15, v16
	v_fma_f16 v16, v38, 0xb9fd, -v37
	;; [unrolled: 2-line block ×3, first 2 shown]
	v_mul_f16_e32 v83, 0xbb7b, v17
	v_add_f16_e32 v77, v81, v77
	v_fma_f16 v81, v24, 0x3b15, -v48
	v_add_f16_e32 v73, v78, v73
	v_fma_f16 v78, v36, 0x388b, -v79
	v_add_f16_e32 v32, v32, v47
	v_add_f16_e32 v29, v65, v29
	;; [unrolled: 1-line block ×3, first 2 shown]
	v_fma_f16 v63, v38, 0x2fb7, -v68
	v_fmac_f16_e32 v48, 0x3b15, v24
	v_add_f16_e32 v15, v16, v15
	v_fma_f16 v14, v39, 0x2fb7, -v14
	v_add_f16_e32 v16, v35, v34
	v_pk_mul_f16 v34, 0xb770, v22 op_sel_hi:[0,1]
	v_fmac_f16_e32 v43, 0x388b, v27
	v_mul_f16_sdwa v30, v17, v30 dst_sel:DWORD dst_unused:UNUSED_PAD src0_sel:WORD_1 src1_sel:DWORD
	v_fmamk_f16 v79, v13, 0xb5ac, v83
	v_add_f16_e32 v73, v78, v73
	v_fma_f16 v78, v38, 0xbbc4, -v80
	v_fma_f16 v61, v13, 0xb5ac, -v83
	v_add_f16_e32 v47, v63, v47
	v_fma_f16 v63, v39, 0xbbc4, -v71
	v_add_f16_e32 v29, v48, v29
	;; [unrolled: 2-line block ×3, first 2 shown]
	v_fma_f16 v13, v13, 0x3b15, -v41
	v_pk_fma_f16 v15, 0x3b15, v27, v34 op_sel:[0,0,1] op_sel_hi:[0,1,0]
	v_pk_fma_f16 v34, 0x3b15, v27, v34 op_sel:[0,0,1] op_sel_hi:[0,1,0] neg_lo:[0,0,1] neg_hi:[0,0,1]
	v_pk_mul_f16 v35, 0xba95, v20 op_sel_hi:[0,1]
	v_add_f16_e32 v38, v7, v43
	v_fmac_f16_e32 v12, 0xb5ac, v25
	v_add_f16_e32 v77, v81, v77
	v_fma_f16 v81, v18, 0xb5ac, -v30
	v_fmac_f16_e32 v30, 0xb5ac, v18
	v_add_f16_e32 v47, v63, v47
	v_fmac_f16_e32 v54, 0x2fb7, v27
	v_add_f16_e32 v13, v13, v14
	v_bfi_b32 v14, 0xffff, v15, v34
	v_pk_fma_f16 v36, 0x388b, v25, v35 op_sel:[0,0,1] op_sel_hi:[0,1,0]
	v_pk_fma_f16 v35, 0x388b, v25, v35 op_sel:[0,0,1] op_sel_hi:[0,1,0] neg_lo:[0,0,1] neg_hi:[0,0,1]
	v_pk_mul_f16 v37, 0xbbf1, v21 op_sel_hi:[0,1]
	v_add_f16_e32 v12, v12, v38
	v_fmac_f16_e32 v10, 0xbbc4, v26
	v_fma_f16 v67, v39, 0x3b15, -v82
	v_add_f16_e32 v29, v30, v29
	v_add_f16_e32 v30, v48, v47
	;; [unrolled: 1-line block ×3, first 2 shown]
	v_fmac_f16_e32 v31, 0xbbc4, v25
	v_pk_add_f16 v14, v7, v14
	v_bfi_b32 v39, 0xffff, v36, v35
	v_pk_fma_f16 v41, 0x2fb7, v26, v37 op_sel:[0,0,1] op_sel_hi:[0,1,0]
	v_pk_fma_f16 v37, 0x2fb7, v26, v37 op_sel:[0,0,1] op_sel_hi:[0,1,0] neg_lo:[0,0,1] neg_hi:[0,0,1]
	v_pk_mul_f16 v43, 0xbb7b, v4 op_sel_hi:[0,1]
	v_add_f16_e32 v10, v10, v12
	v_fmac_f16_e32 v42, 0xb9fd, v23
	v_add_f16_e32 v57, v7, v57
	v_add_f16_e32 v31, v31, v47
	v_fmac_f16_e32 v56, 0xb5ac, v26
	v_pk_add_f16 v14, v39, v14
	v_bfi_b32 v38, 0xffff, v41, v37
	v_pk_fma_f16 v39, 0xb5ac, v23, v43 op_sel:[0,0,1] op_sel_hi:[0,1,0]
	v_pk_fma_f16 v43, 0xb5ac, v23, v43 op_sel:[0,0,1] op_sel_hi:[0,1,0] neg_lo:[0,0,1] neg_hi:[0,0,1]
	v_pk_mul_f16 v44, 0xb94e, v8 op_sel_hi:[0,1]
	v_add_f16_e32 v10, v42, v10
	v_fmac_f16_e32 v46, 0x2fb7, v24
	v_add_f16_e32 v57, v59, v57
	v_fma_f16 v59, v26, 0x3b15, -v72
	v_mul_f16_sdwa v51, v4, v51 dst_sel:DWORD dst_unused:UNUSED_PAD src0_sel:WORD_1 src1_sel:DWORD
	v_add_f16_e32 v31, v56, v31
	v_fmac_f16_e32 v62, 0x3b15, v23
	v_pk_add_f16 v12, v38, v14
	v_bfi_b32 v14, 0xffff, v39, v43
	v_pk_fma_f16 v38, 0xb9fd, v24, v44 op_sel:[0,0,1] op_sel_hi:[0,1,0]
	v_pk_fma_f16 v44, 0xb9fd, v24, v44 op_sel:[0,0,1] op_sel_hi:[0,1,0] neg_lo:[0,0,1] neg_hi:[0,0,1]
	v_pk_mul_f16 v45, 0xb3a8, v17 op_sel_hi:[0,1]
	v_pk_mul_f16 v27, 0xbbc4, v27 op_sel_hi:[0,1]
	v_add_f16_e32 v10, v46, v10
	v_fmac_f16_e32 v53, 0x3b15, v18
	v_add_f16_e32 v57, v59, v57
	v_fma_f16 v59, v23, 0x2fb7, -v51
	v_add_f16_e32 v31, v62, v31
	v_fmac_f16_e32 v66, 0x388b, v24
	v_pk_add_f16 v12, v14, v12
	v_bfi_b32 v14, 0xffff, v38, v44
	v_pk_fma_f16 v42, 0xbbc4, v18, v45 op_sel:[0,0,1] op_sel_hi:[0,1,0]
	v_pk_fma_f16 v45, 0xbbc4, v18, v45 op_sel:[0,0,1] op_sel_hi:[0,1,0] neg_lo:[0,0,1] neg_hi:[0,0,1]
	v_pk_fma_f16 v47, 0xb3a8, v22, v27 op_sel:[0,0,1] op_sel_hi:[0,1,0]
	v_alignbit_b32 v48, s0, v7, 16
	v_pk_mul_f16 v25, 0x3b15, v25 op_sel_hi:[0,1]
	v_add_f16_e32 v10, v53, v10
	v_add_f16_e32 v57, v59, v57
	v_fma_f16 v59, v24, 0xbbc4, -v75
	v_fmac_f16_e32 v72, 0x3b15, v26
	v_add_f16_e32 v31, v66, v31
	v_fmac_f16_e32 v69, 0xb9fd, v18
	v_pk_add_f16 v12, v14, v12
	v_bfi_b32 v14, 0xffff, v42, v45
	v_pk_add_f16 v48, v48, v47
	v_pk_fma_f16 v50, 0x3770, v20, v25 op_sel:[0,0,1] op_sel_hi:[0,1,0]
	v_pk_mul_f16 v26, 0xb9fd, v26 op_sel_hi:[0,1]
	v_pk_fma_f16 v22, 0xb3a8, v22, v27 op_sel:[0,0,1] op_sel_hi:[0,1,0] neg_lo:[0,1,0] neg_hi:[0,1,0]
	v_pack_b32_f16 v10, v10, v13
	v_alignbit_b32 v13, s0, v47, 16
	v_add_f16_e32 v57, v59, v57
	v_mov_b32_e32 v59, 0x3a95
	v_fmac_f16_e32 v51, 0x2fb7, v23
	v_mad_u32_u24 v33, v3, 48, v0
	v_add_f16_e32 v31, v69, v31
	v_pk_add_f16 v12, v14, v12
	v_pk_add_f16 v14, v50, v48
	v_pk_fma_f16 v46, 0xb94e, v21, v26 op_sel:[0,0,1] op_sel_hi:[0,1,0]
	v_pk_mul_f16 v23, 0x388b, v23 op_sel_hi:[0,1]
	v_pk_add_f16 v22, v7, v22 op_sel:[1,0] op_sel_hi:[0,1]
	v_pk_fma_f16 v20, 0x3770, v20, v25 op_sel:[0,0,1] op_sel_hi:[0,1,0] neg_lo:[0,1,0] neg_hi:[0,1,0]
	v_pk_add_f16 v13, v7, v13
	v_alignbit_b32 v25, s0, v50, 16
	v_mul_f16_sdwa v59, v17, v59 dst_sel:DWORD dst_unused:UNUSED_PAD src0_sel:WORD_1 src1_sel:DWORD
	v_fmac_f16_e32 v75, 0xbbc4, v24
	ds_write2_b32 v33, v28, v12 offset1:1
	v_pack_b32_f16 v12, v31, v16
	v_pk_add_f16 v14, v46, v14
	v_pk_fma_f16 v16, 0x3a95, v4, v23 op_sel:[0,0,1] op_sel_hi:[0,1,0]
	v_pk_mul_f16 v24, 0xb5ac, v24 op_sel_hi:[0,1]
	v_pk_add_f16 v20, v20, v22
	v_pk_fma_f16 v21, 0xb94e, v21, v26 op_sel:[0,0,1] op_sel_hi:[0,1,0] neg_lo:[0,1,0] neg_hi:[0,1,0]
	v_pk_add_f16 v13, v25, v13
	v_alignbit_b32 v22, s0, v46, 16
	v_bfi_b32 v15, 0xffff, v34, v15
	v_fma_f16 v84, v18, 0x388b, -v59
	v_fmac_f16_e32 v59, 0x388b, v18
	v_pk_add_f16 v14, v16, v14
	v_pk_fma_f16 v27, 0xbb7b, v8, v24 op_sel:[0,0,1] op_sel_hi:[0,1,0]
	v_pk_mul_f16 v18, 0x2fb7, v18 op_sel_hi:[0,1]
	v_pk_add_f16 v20, v21, v20
	v_pk_fma_f16 v4, 0x3a95, v4, v23 op_sel:[0,0,1] op_sel_hi:[0,1,0] neg_lo:[0,1,0] neg_hi:[0,1,0]
	v_pk_add_f16 v13, v22, v13
	v_alignbit_b32 v16, s0, v16, 16
	v_pk_add_f16 v7, v7, v15
	v_bfi_b32 v15, 0xffff, v35, v36
	v_add_f16_e32 v32, v72, v32
	v_pk_fma_f16 v25, 0x3bf1, v17, v18 op_sel:[0,0,1] op_sel_hi:[0,1,0]
	v_pk_add_f16 v4, v4, v20
	v_pk_fma_f16 v8, 0xbb7b, v8, v24 op_sel:[0,0,1] op_sel_hi:[0,1,0] neg_lo:[0,1,0] neg_hi:[0,1,0]
	v_pk_add_f16 v13, v16, v13
	v_alignbit_b32 v16, s0, v27, 16
	v_pk_add_f16 v7, v15, v7
	v_bfi_b32 v15, 0xffff, v37, v41
	v_add_f16_e32 v73, v78, v73
	v_add_f16_e32 v32, v51, v32
	v_pk_add_f16 v14, v27, v14
	v_pk_add_f16 v4, v8, v4
	v_pk_fma_f16 v8, 0x3bf1, v17, v18 op_sel:[0,0,1] op_sel_hi:[0,1,0] neg_lo:[0,1,0] neg_hi:[0,1,0]
	v_pk_add_f16 v13, v16, v13
	v_alignbit_b32 v16, s0, v25, 16
	v_pk_add_f16 v7, v15, v7
	v_bfi_b32 v15, 0xffff, v43, v39
	v_add_f16_e32 v64, v67, v73
	v_add_f16_e32 v32, v75, v32
	ds_write2_b32 v33, v10, v12 offset0:2 offset1:3
	v_pk_add_f16 v10, v25, v14
	v_pk_add_f16 v4, v8, v4
	;; [unrolled: 1-line block ×4, first 2 shown]
	v_bfi_b32 v12, 0xffff, v44, v38
	v_add_f16_e32 v61, v61, v64
	v_add_f16_e32 v32, v59, v32
	;; [unrolled: 1-line block ×5, first 2 shown]
	v_alignbit_b32 v10, v10, v4, 16
	v_pack_b32_f16 v4, v8, v4
	v_pk_add_f16 v7, v12, v7
	v_bfi_b32 v8, 0xffff, v45, v42
	v_pack_b32_f16 v13, v29, v61
	v_pack_b32_f16 v14, v32, v30
	;; [unrolled: 1-line block ×6, first 2 shown]
	v_pk_add_f16 v7, v8, v7
	ds_write2_b32 v33, v14, v13 offset0:4 offset1:5
	ds_write2_b32 v33, v4, v10 offset0:6 offset1:7
	;; [unrolled: 1-line block ×4, first 2 shown]
	ds_write_b32 v33, v7 offset:48
.LBB0_15:
	s_or_b32 exec_lo, exec_lo, s1
	v_and_b32_e32 v4, 0xff, v3
	v_add_nc_u16 v7, v3, 52
	v_add_nc_u16 v9, v3, 0x68
	v_mov_b32_e32 v14, 3
	s_load_dwordx2 s[2:3], s[2:3], 0x0
	v_mul_lo_u16 v4, 0x4f, v4
	v_and_b32_e32 v8, 0xff, v7
	v_and_b32_e32 v11, 0xff, v9
	s_waitcnt lgkmcnt(0)
	s_barrier
	v_lshrrev_b16 v4, 10, v4
	v_mul_lo_u16 v8, 0x4f, v8
	buffer_gl0_inv
	v_mov_b32_e32 v37, 0xd0
	v_mov_b32_e32 v38, 2
	v_mul_lo_u16 v10, v4, 13
	v_lshrrev_b16 v32, 10, v8
	v_mul_lo_u16 v8, 0x4f, v11
	v_mul_u32_u24_sdwa v4, v4, v37 dst_sel:DWORD dst_unused:UNUSED_PAD src0_sel:WORD_0 src1_sel:DWORD
	v_mul_u32_u24_e32 v36, 5, v3
	v_sub_nc_u16 v31, v3, v10
	v_mul_lo_u16 v11, v32, 13
	v_lshrrev_b16 v33, 10, v8
	v_mul_u32_u24_sdwa v32, v32, v37 dst_sel:DWORD dst_unused:UNUSED_PAD src0_sel:WORD_0 src1_sel:DWORD
	v_lshlrev_b32_e32 v36, 2, v36
	v_mul_u32_u24_sdwa v10, v31, v14 dst_sel:DWORD dst_unused:UNUSED_PAD src0_sel:BYTE_0 src1_sel:DWORD
	v_sub_nc_u16 v34, v7, v11
	v_mul_lo_u16 v7, v33, 13
	v_mul_u32_u24_sdwa v33, v33, v37 dst_sel:DWORD dst_unused:UNUSED_PAD src0_sel:WORD_0 src1_sel:DWORD
	v_lshlrev_b32_sdwa v31, v38, v31 dst_sel:DWORD dst_unused:UNUSED_PAD src0_sel:DWORD src1_sel:BYTE_0
	v_lshlrev_b32_e32 v8, 2, v10
	v_add_nc_u32_e32 v10, 0x800, v0
	v_sub_nc_u16 v35, v9, v7
	v_add_nc_u32_e32 v9, 0x200, v0
	v_add3_u32 v4, 0, v4, v31
	global_load_dwordx3 v[11:13], v8, s[12:13]
	v_mul_u32_u24_sdwa v8, v34, v14 dst_sel:DWORD dst_unused:UNUSED_PAD src0_sel:BYTE_0 src1_sel:DWORD
	v_lshlrev_b32_sdwa v34, v38, v34 dst_sel:DWORD dst_unused:UNUSED_PAD src0_sel:DWORD src1_sel:BYTE_0
	s_add_u32 s1, s12, 0x98c
	s_addc_u32 s4, s13, 0
	s_mov_b32 s5, exec_lo
	v_lshlrev_b32_e32 v7, 2, v8
	v_mul_u32_u24_sdwa v8, v35, v14 dst_sel:DWORD dst_unused:UNUSED_PAD src0_sel:BYTE_0 src1_sel:DWORD
	v_lshlrev_b32_sdwa v35, v38, v35 dst_sel:DWORD dst_unused:UNUSED_PAD src0_sel:DWORD src1_sel:BYTE_0
	v_add3_u32 v31, 0, v32, v34
	global_load_dwordx3 v[14:16], v7, s[12:13]
	v_lshlrev_b32_e32 v7, 2, v8
	v_add3_u32 v32, 0, v33, v35
	global_load_dwordx3 v[20:22], v7, s[12:13]
	ds_read2_b32 v[7:8], v19 offset0:160 offset1:212
	ds_read2_b32 v[17:18], v0 offset0:104 offset1:156
	;; [unrolled: 1-line block ×3, first 2 shown]
	ds_read2_b32 v[25:26], v0 offset1:52
	ds_read2_b32 v[27:28], v10 offset0:8 offset1:60
	ds_read2_b32 v[29:30], v9 offset0:80 offset1:132
	s_waitcnt vmcnt(0) lgkmcnt(0)
	s_barrier
	buffer_gl0_inv
	v_lshrrev_b32_e32 v42, 16, v8
	v_lshrrev_b32_e32 v40, 16, v18
	;; [unrolled: 1-line block ×12, first 2 shown]
	v_mul_f16_sdwa v33, v11, v40 dst_sel:DWORD dst_unused:UNUSED_PAD src0_sel:WORD_1 src1_sel:DWORD
	v_mul_f16_sdwa v34, v11, v18 dst_sel:DWORD dst_unused:UNUSED_PAD src0_sel:WORD_1 src1_sel:DWORD
	v_mul_f16_sdwa v35, v12, v41 dst_sel:DWORD dst_unused:UNUSED_PAD src0_sel:WORD_1 src1_sel:DWORD
	v_mul_f16_sdwa v49, v12, v23 dst_sel:DWORD dst_unused:UNUSED_PAD src0_sel:WORD_1 src1_sel:DWORD
	v_mul_f16_sdwa v50, v13, v42 dst_sel:DWORD dst_unused:UNUSED_PAD src0_sel:WORD_1 src1_sel:DWORD
	v_mul_f16_sdwa v51, v13, v8 dst_sel:DWORD dst_unused:UNUSED_PAD src0_sel:WORD_1 src1_sel:DWORD
	v_fmac_f16_e32 v33, v11, v18
	v_fma_f16 v11, v11, v40, -v34
	v_fmac_f16_e32 v35, v12, v23
	v_fma_f16 v12, v12, v41, -v49
	;; [unrolled: 2-line block ×3, first 2 shown]
	v_mul_f16_sdwa v13, v14, v48 dst_sel:DWORD dst_unused:UNUSED_PAD src0_sel:WORD_1 src1_sel:DWORD
	v_mul_f16_sdwa v18, v14, v29 dst_sel:DWORD dst_unused:UNUSED_PAD src0_sel:WORD_1 src1_sel:DWORD
	v_mul_f16_sdwa v23, v15, v43 dst_sel:DWORD dst_unused:UNUSED_PAD src0_sel:WORD_1 src1_sel:DWORD
	v_mul_f16_sdwa v34, v15, v24 dst_sel:DWORD dst_unused:UNUSED_PAD src0_sel:WORD_1 src1_sel:DWORD
	v_mul_f16_sdwa v40, v37, v16 dst_sel:DWORD dst_unused:UNUSED_PAD src0_sel:DWORD src1_sel:WORD_1
	v_mul_f16_sdwa v41, v27, v16 dst_sel:DWORD dst_unused:UNUSED_PAD src0_sel:DWORD src1_sel:WORD_1
	;; [unrolled: 1-line block ×8, first 2 shown]
	v_fmac_f16_e32 v13, v14, v29
	v_fma_f16 v14, v14, v48, -v18
	v_fmac_f16_e32 v23, v15, v24
	v_fma_f16 v15, v15, v43, -v34
	;; [unrolled: 2-line block ×5, first 2 shown]
	v_fmac_f16_e32 v53, v28, v22
	v_sub_f16_e32 v20, v25, v35
	v_sub_f16_e32 v12, v44, v12
	;; [unrolled: 1-line block ×4, first 2 shown]
	v_fma_f16 v22, v38, v22, -v54
	v_sub_f16_e32 v23, v26, v23
	v_sub_f16_e32 v15, v45, v15
	;; [unrolled: 1-line block ×4, first 2 shown]
	v_fma_f16 v24, v25, 2.0, -v20
	v_fma_f16 v25, v44, 2.0, -v12
	;; [unrolled: 1-line block ×4, first 2 shown]
	v_sub_f16_e32 v29, v17, v51
	v_sub_f16_e32 v7, v46, v7
	;; [unrolled: 1-line block ×4, first 2 shown]
	v_add_f16_e32 v8, v20, v8
	v_sub_f16_e32 v21, v12, v21
	v_fma_f16 v26, v26, 2.0, -v23
	v_fma_f16 v33, v45, 2.0, -v15
	;; [unrolled: 1-line block ×4, first 2 shown]
	v_sub_f16_e32 v27, v24, v27
	v_sub_f16_e32 v11, v25, v11
	v_fma_f16 v17, v17, 2.0, -v29
	v_fma_f16 v34, v46, 2.0, -v7
	;; [unrolled: 1-line block ×6, first 2 shown]
	v_add_f16_e32 v16, v23, v16
	v_sub_f16_e32 v28, v15, v28
	v_add_f16_e32 v22, v29, v22
	v_sub_f16_e32 v30, v7, v30
	v_sub_f16_e32 v13, v26, v13
	;; [unrolled: 1-line block ×3, first 2 shown]
	v_pack_b32_f16 v8, v8, v21
	v_fma_f16 v21, v24, 2.0, -v27
	v_fma_f16 v24, v25, 2.0, -v11
	v_sub_f16_e32 v25, v17, v35
	v_sub_f16_e32 v18, v34, v18
	v_pack_b32_f16 v11, v27, v11
	v_fma_f16 v23, v23, 2.0, -v16
	v_fma_f16 v15, v15, 2.0, -v28
	;; [unrolled: 1-line block ×3, first 2 shown]
	v_pack_b32_f16 v12, v20, v12
	v_pack_b32_f16 v20, v22, v30
	v_fma_f16 v22, v26, 2.0, -v13
	v_fma_f16 v26, v33, 2.0, -v14
	v_fma_f16 v7, v7, 2.0, -v30
	v_fma_f16 v17, v17, 2.0, -v25
	v_fma_f16 v27, v34, 2.0, -v18
	v_pack_b32_f16 v21, v21, v24
	v_pack_b32_f16 v16, v16, v28
	ds_write2_b32 v4, v11, v8 offset0:26 offset1:39
	v_pack_b32_f16 v11, v13, v14
	v_pack_b32_f16 v8, v23, v15
	v_pack_b32_f16 v13, v22, v26
	v_pack_b32_f16 v7, v29, v7
	v_pack_b32_f16 v14, v17, v27
	v_pack_b32_f16 v15, v25, v18
	ds_write2_b32 v4, v21, v12 offset1:13
	ds_write2_b32 v31, v11, v16 offset0:26 offset1:39
	ds_write2_b32 v31, v13, v8 offset1:13
	ds_write2_b32 v32, v14, v7 offset1:13
	ds_write2_b32 v32, v15, v20 offset0:26 offset1:39
	s_waitcnt lgkmcnt(0)
	s_barrier
	buffer_gl0_inv
	s_clause 0x1
	global_load_dwordx4 v[11:14], v36, s[12:13] offset:156
	global_load_dword v32, v36, s[12:13] offset:172
	ds_read2_b32 v[15:16], v0 offset1:52
	ds_read2_b32 v[17:18], v0 offset0:104 offset1:156
	ds_read2_b32 v[20:21], v9 offset0:80 offset1:132
	;; [unrolled: 1-line block ×5, first 2 shown]
	v_mov_b32_e32 v4, 0
	s_waitcnt vmcnt(0) lgkmcnt(0)
	s_barrier
	buffer_gl0_inv
	v_lshlrev_b64 v[7:8], 2, v[3:4]
	v_add_co_u32 v28, s0, s12, v7
	v_add_co_ci_u32_e64 v29, s0, s13, v8, s0
	v_lshrrev_b32_e32 v39, 16, v17
	v_lshrrev_b32_e32 v34, 16, v18
	;; [unrolled: 1-line block ×12, first 2 shown]
	v_add_co_u32 v30, s0, 0x800, v28
	v_add_co_ci_u32_e64 v31, s0, 0, v29, s0
	v_mul_f16_sdwa v44, v11, v39 dst_sel:DWORD dst_unused:UNUSED_PAD src0_sel:WORD_1 src1_sel:DWORD
	v_mul_f16_sdwa v45, v11, v17 dst_sel:DWORD dst_unused:UNUSED_PAD src0_sel:WORD_1 src1_sel:DWORD
	;; [unrolled: 1-line block ×6, first 2 shown]
	v_mul_f16_sdwa v54, v34, v11 dst_sel:DWORD dst_unused:UNUSED_PAD src0_sel:DWORD src1_sel:WORD_1
	v_mul_f16_sdwa v55, v18, v11 dst_sel:DWORD dst_unused:UNUSED_PAD src0_sel:DWORD src1_sel:WORD_1
	;; [unrolled: 1-line block ×5, first 2 shown]
	v_mul_f16_sdwa v46, v12, v40 dst_sel:DWORD dst_unused:UNUSED_PAD src0_sel:WORD_1 src1_sel:DWORD
	v_mul_f16_sdwa v47, v12, v20 dst_sel:DWORD dst_unused:UNUSED_PAD src0_sel:WORD_1 src1_sel:DWORD
	;; [unrolled: 1-line block ×4, first 2 shown]
	v_mul_f16_sdwa v56, v35, v12 dst_sel:DWORD dst_unused:UNUSED_PAD src0_sel:DWORD src1_sel:WORD_1
	v_mul_f16_sdwa v57, v21, v12 dst_sel:DWORD dst_unused:UNUSED_PAD src0_sel:DWORD src1_sel:WORD_1
	;; [unrolled: 1-line block ×4, first 2 shown]
	v_fmac_f16_e32 v44, v11, v17
	v_fma_f16 v17, v11, v39, -v45
	v_fmac_f16_e32 v48, v13, v22
	v_fma_f16 v22, v13, v41, -v49
	;; [unrolled: 2-line block ×3, first 2 shown]
	v_mul_f16_sdwa v62, v38, v32 dst_sel:DWORD dst_unused:UNUSED_PAD src0_sel:DWORD src1_sel:WORD_1
	v_fmac_f16_e32 v54, v18, v11
	v_fma_f16 v11, v34, v11, -v55
	v_fmac_f16_e32 v58, v23, v13
	v_fma_f16 v13, v36, v13, -v59
	v_fma_f16 v18, v38, v32, -v63
	v_fmac_f16_e32 v46, v12, v20
	v_fma_f16 v20, v12, v40, -v47
	v_fmac_f16_e32 v50, v14, v24
	v_fma_f16 v24, v14, v42, -v51
	v_fmac_f16_e32 v56, v21, v12
	v_fma_f16 v12, v35, v12, -v57
	v_fmac_f16_e32 v60, v25, v14
	v_fma_f16 v14, v37, v14, -v61
	v_sub_f16_e32 v36, v22, v26
	v_add_f16_e32 v37, v17, v22
	v_add_f16_e32 v22, v22, v26
	v_fmac_f16_e32 v62, v27, v32
	v_add_f16_e32 v34, v44, v48
	v_add_f16_e32 v35, v48, v52
	v_sub_f16_e32 v38, v48, v52
	v_sub_f16_e32 v47, v13, v18
	v_add_f16_e32 v48, v11, v13
	v_add_f16_e32 v13, v13, v18
	;; [unrolled: 1-line block ×5, first 2 shown]
	v_fmac_f16_e32 v17, -0.5, v22
	v_add_f16_e32 v39, v16, v56
	v_sub_f16_e32 v41, v12, v14
	v_add_f16_e32 v12, v12, v14
	v_add_f16_e32 v45, v54, v58
	;; [unrolled: 1-line block ×3, first 2 shown]
	v_sub_f16_e32 v32, v46, v50
	v_add_f16_e32 v46, v58, v62
	v_sub_f16_e32 v49, v58, v62
	v_fmac_f16_e32 v44, -0.5, v35
	v_fmac_f16_e32 v11, -0.5, v13
	v_sub_f16_e32 v25, v20, v24
	v_add_f16_e32 v20, v20, v24
	v_fma_f16 v15, -0.5, v23, v15
	v_add_f16_e32 v23, v27, v24
	v_add_f16_e32 v14, v42, v14
	;; [unrolled: 1-line block ×3, first 2 shown]
	v_fmamk_f16 v27, v38, 0x3aee, v17
	v_add_f16_e32 v22, v39, v60
	v_fmac_f16_e32 v33, -0.5, v12
	v_add_f16_e32 v12, v45, v62
	v_fmac_f16_e32 v17, 0xbaee, v38
	v_add_f16_e32 v40, v56, v60
	v_add_f16_e32 v24, v37, v26
	v_fmac_f16_e32 v54, -0.5, v46
	v_fmamk_f16 v26, v36, 0xbaee, v44
	v_fmac_f16_e32 v44, 0x3aee, v36
	v_fmamk_f16 v36, v49, 0x3aee, v11
	v_fmac_f16_e32 v11, 0xbaee, v49
	v_add_f16_e32 v21, v21, v50
	v_fmac_f16_e32 v4, -0.5, v20
	v_add_f16_e32 v20, v34, v52
	v_add_f16_e32 v38, v14, v18
	v_sub_f16_e32 v14, v14, v18
	v_mul_f16_e32 v18, 0xbaee, v27
	v_mul_f16_e32 v27, 0.5, v27
	v_add_f16_e32 v37, v22, v12
	v_sub_f16_e32 v12, v22, v12
	v_mul_f16_e32 v22, 0xbaee, v17
	v_mul_f16_e32 v17, -0.5, v17
	v_sub_f16_e32 v43, v56, v60
	v_fmac_f16_e32 v16, -0.5, v40
	v_fmamk_f16 v35, v47, 0xbaee, v54
	v_mul_f16_e32 v39, 0xbaee, v36
	v_mul_f16_e32 v36, 0.5, v36
	v_fmac_f16_e32 v54, 0x3aee, v47
	v_mul_f16_e32 v40, 0xbaee, v11
	v_mul_f16_e32 v11, -0.5, v11
	v_fmamk_f16 v13, v25, 0xbaee, v15
	v_fmac_f16_e32 v15, 0x3aee, v25
	v_fmamk_f16 v25, v32, 0x3aee, v4
	v_fmac_f16_e32 v4, 0xbaee, v32
	v_add_f16_e32 v32, v21, v20
	v_add_f16_e32 v34, v23, v24
	v_fmac_f16_e32 v18, 0.5, v26
	v_fmac_f16_e32 v27, 0x3aee, v26
	v_fmac_f16_e32 v22, -0.5, v44
	v_fmac_f16_e32 v17, 0x3aee, v44
	v_sub_f16_e32 v20, v21, v20
	v_sub_f16_e32 v21, v23, v24
	v_fmamk_f16 v23, v41, 0xbaee, v16
	v_fmamk_f16 v24, v43, 0x3aee, v33
	v_fmac_f16_e32 v39, 0.5, v35
	v_fmac_f16_e32 v36, 0x3aee, v35
	v_fmac_f16_e32 v16, 0x3aee, v41
	;; [unrolled: 1-line block ×3, first 2 shown]
	v_fmac_f16_e32 v40, -0.5, v54
	v_fmac_f16_e32 v11, 0x3aee, v54
	v_pack_b32_f16 v32, v32, v34
	v_pack_b32_f16 v12, v12, v14
	v_add_f16_e32 v14, v13, v18
	v_add_f16_e32 v34, v25, v27
	v_add_f16_e32 v26, v15, v22
	v_add_f16_e32 v35, v4, v17
	v_sub_f16_e32 v13, v13, v18
	v_sub_f16_e32 v15, v15, v22
	;; [unrolled: 1-line block ×4, first 2 shown]
	v_add_f16_e32 v17, v23, v39
	v_add_f16_e32 v25, v24, v36
	;; [unrolled: 1-line block ×4, first 2 shown]
	v_sub_f16_e32 v23, v23, v39
	v_sub_f16_e32 v16, v16, v40
	v_sub_f16_e32 v24, v24, v36
	v_sub_f16_e32 v11, v33, v11
	v_pack_b32_f16 v14, v14, v34
	v_pack_b32_f16 v20, v20, v21
	;; [unrolled: 1-line block ×10, first 2 shown]
	ds_write2_b32 v0, v32, v14 offset1:52
	ds_write2_b32 v0, v26, v20 offset0:104 offset1:156
	ds_write2_b32 v9, v13, v4 offset0:80 offset1:132
	;; [unrolled: 1-line block ×5, first 2 shown]
	s_waitcnt lgkmcnt(0)
	s_barrier
	buffer_gl0_inv
	s_clause 0x5
	global_load_dword v4, v[28:29], off offset:1196
	global_load_dword v24, v[28:29], off offset:1404
	;; [unrolled: 1-line block ×6, first 2 shown]
	ds_read2_b32 v[11:12], v19 offset0:56 offset1:108
	ds_read2_b32 v[13:14], v19 offset0:160 offset1:212
	;; [unrolled: 1-line block ×3, first 2 shown]
	ds_read2_b32 v[17:18], v0 offset1:52
	ds_read2_b32 v[20:21], v0 offset0:104 offset1:156
	ds_read2_b32 v[22:23], v9 offset0:80 offset1:132
	s_waitcnt vmcnt(0) lgkmcnt(0)
	s_barrier
	buffer_gl0_inv
	v_pk_mul_f16 v29, v4, v11 op_sel:[0,1]
	v_pk_mul_f16 v30, v24, v12 op_sel:[0,1]
	;; [unrolled: 1-line block ×6, first 2 shown]
	v_pk_fma_f16 v35, v4, v11, v29 op_sel:[0,0,1] op_sel_hi:[1,1,0]
	v_pk_fma_f16 v4, v4, v11, v29 op_sel:[0,0,1] op_sel_hi:[1,0,0] neg_lo:[1,0,0] neg_hi:[1,0,0]
	v_pk_fma_f16 v11, v24, v12, v30 op_sel:[0,0,1] op_sel_hi:[1,1,0]
	v_pk_fma_f16 v12, v24, v12, v30 op_sel:[0,0,1] op_sel_hi:[1,0,0] neg_lo:[1,0,0] neg_hi:[1,0,0]
	;; [unrolled: 2-line block ×6, first 2 shown]
	v_bfi_b32 v4, 0xffff, v35, v4
	v_bfi_b32 v11, 0xffff, v11, v12
	;; [unrolled: 1-line block ×6, first 2 shown]
	v_pk_add_f16 v4, v17, v4 neg_lo:[0,1] neg_hi:[0,1]
	v_pk_add_f16 v11, v18, v11 neg_lo:[0,1] neg_hi:[0,1]
	;; [unrolled: 1-line block ×6, first 2 shown]
	v_pk_fma_f16 v16, v17, 2.0, v4 op_sel_hi:[1,0,1] neg_lo:[0,0,1] neg_hi:[0,0,1]
	v_pk_fma_f16 v17, v18, 2.0, v11 op_sel_hi:[1,0,1] neg_lo:[0,0,1] neg_hi:[0,0,1]
	;; [unrolled: 1-line block ×6, first 2 shown]
	ds_write2_b32 v19, v4, v11 offset0:56 offset1:108
	ds_write2_b32 v19, v12, v13 offset0:160 offset1:212
	;; [unrolled: 1-line block ×3, first 2 shown]
	ds_write2_b32 v0, v16, v17 offset1:52
	ds_write2_b32 v0, v18, v20 offset0:104 offset1:156
	ds_write2_b32 v9, v21, v22 offset0:80 offset1:132
	s_waitcnt lgkmcnt(0)
	s_barrier
	buffer_gl0_inv
	ds_read_b32 v12, v0
	v_lshlrev_b32_e32 v4, 2, v3
                                        ; implicit-def: $vgpr11
                                        ; implicit-def: $vgpr9
                                        ; implicit-def: $vgpr10
	v_sub_nc_u32_e32 v4, 0, v4
	v_cmpx_ne_u32_e32 0, v3
	s_xor_b32 s5, exec_lo, s5
	s_cbranch_execz .LBB0_17
; %bb.16:
	v_add_co_u32 v9, s0, s1, v7
	v_add_co_ci_u32_e64 v10, s0, s4, v8, s0
	global_load_dword v9, v[9:10], off
	ds_read_b32 v10, v4 offset:2496
	s_waitcnt lgkmcnt(0)
	v_pk_add_f16 v11, v12, v10 neg_lo:[0,1] neg_hi:[0,1]
	v_pk_add_f16 v10, v10, v12
	v_bfi_b32 v12, 0xffff, v11, v10
	v_bfi_b32 v10, 0xffff, v10, v11
	v_pk_mul_f16 v12, v12, 0.5 op_sel_hi:[1,0]
	v_pk_mul_f16 v13, v10, 0.5 op_sel_hi:[1,0]
	s_waitcnt vmcnt(0)
	v_pk_mul_f16 v11, v9, v12 op_sel:[1,0]
	v_pk_mul_f16 v12, v9, v12 op_sel_hi:[0,1]
	v_pk_fma_f16 v9, v10, 0.5, v11 op_sel_hi:[1,0,1]
	v_sub_f16_e32 v10, v13, v11
	v_sub_f16_sdwa v13, v11, v13 dst_sel:DWORD dst_unused:UNUSED_PAD src0_sel:WORD_1 src1_sel:WORD_1
	v_pk_add_f16 v14, v9, v12 op_sel:[0,1] op_sel_hi:[1,0]
	v_pk_add_f16 v15, v9, v12 op_sel:[0,1] op_sel_hi:[1,0] neg_lo:[0,1] neg_hi:[0,1]
	v_sub_f16_sdwa v9, v10, v12 dst_sel:DWORD dst_unused:UNUSED_PAD src0_sel:DWORD src1_sel:WORD_1
	v_sub_f16_e32 v10, v13, v12
                                        ; implicit-def: $vgpr12
	v_bfi_b32 v11, 0xffff, v14, v15
.LBB0_17:
	s_andn2_saveexec_b32 s0, s5
	s_cbranch_execz .LBB0_19
; %bb.18:
	v_mov_b32_e32 v10, 0
	s_waitcnt lgkmcnt(0)
	v_alignbit_b32 v9, s0, v12, 16
	ds_read_u16 v11, v10 offset:1250
	v_pk_add_f16 v13, v9, v12
	v_sub_f16_sdwa v9, v12, v12 dst_sel:DWORD dst_unused:UNUSED_PAD src0_sel:DWORD src1_sel:WORD_1
	s_waitcnt lgkmcnt(0)
	v_xor_b32_e32 v12, 0x8000, v11
	v_pack_b32_f16 v11, v13, 0
	ds_write_b16 v10, v12 offset:1250
.LBB0_19:
	s_or_b32 exec_lo, exec_lo, s0
	v_add_co_u32 v7, s0, s1, v7
	v_add_co_ci_u32_e64 v8, s0, s4, v8, s0
	s_waitcnt lgkmcnt(0)
	s_clause 0x4
	global_load_dword v12, v[7:8], off offset:208
	global_load_dword v13, v[7:8], off offset:416
	;; [unrolled: 1-line block ×5, first 2 shown]
	ds_write_b16 v4, v10 offset:2498
	ds_write_b32 v0, v11
	ds_write_b16 v4, v9 offset:2496
	ds_read_b32 v8, v0 offset:208
	ds_read_b32 v9, v4 offset:2288
	s_waitcnt lgkmcnt(0)
	v_pk_add_f16 v10, v8, v9 neg_lo:[0,1] neg_hi:[0,1]
	v_pk_add_f16 v8, v8, v9
	v_bfi_b32 v9, 0xffff, v10, v8
	v_bfi_b32 v8, 0xffff, v8, v10
	v_pk_mul_f16 v9, v9, 0.5 op_sel_hi:[1,0]
	v_pk_mul_f16 v8, v8, 0.5 op_sel_hi:[1,0]
	s_waitcnt vmcnt(4)
	v_pk_fma_f16 v10, v12, v9, v8 op_sel:[1,0,0]
	v_pk_mul_f16 v11, v12, v9 op_sel_hi:[0,1]
	v_pk_fma_f16 v16, v12, v9, v8 op_sel:[1,0,0] neg_lo:[1,0,0] neg_hi:[1,0,0]
	v_pk_fma_f16 v8, v12, v9, v8 op_sel:[1,0,0] neg_lo:[0,0,1] neg_hi:[0,0,1]
	v_pk_add_f16 v9, v10, v11 op_sel:[0,1] op_sel_hi:[1,0]
	v_pk_add_f16 v10, v10, v11 op_sel:[0,1] op_sel_hi:[1,0] neg_lo:[0,1] neg_hi:[0,1]
	v_pk_add_f16 v12, v16, v11 op_sel:[0,1] op_sel_hi:[1,0] neg_lo:[0,1] neg_hi:[0,1]
	;; [unrolled: 1-line block ×3, first 2 shown]
	v_bfi_b32 v9, 0xffff, v9, v10
	v_bfi_b32 v8, 0xffff, v12, v8
	ds_write_b32 v0, v9 offset:208
	ds_write_b32 v4, v8 offset:2288
	ds_read_b32 v8, v0 offset:416
	ds_read_b32 v9, v4 offset:2080
	s_waitcnt lgkmcnt(0)
	v_pk_add_f16 v10, v8, v9 neg_lo:[0,1] neg_hi:[0,1]
	v_pk_add_f16 v8, v8, v9
	v_bfi_b32 v9, 0xffff, v10, v8
	v_bfi_b32 v8, 0xffff, v8, v10
	v_pk_mul_f16 v9, v9, 0.5 op_sel_hi:[1,0]
	v_pk_mul_f16 v8, v8, 0.5 op_sel_hi:[1,0]
	s_waitcnt vmcnt(3)
	v_pk_mul_f16 v11, v13, v9 op_sel_hi:[0,1]
	v_pk_fma_f16 v10, v13, v9, v8 op_sel:[1,0,0]
	v_pk_fma_f16 v12, v13, v9, v8 op_sel:[1,0,0] neg_lo:[1,0,0] neg_hi:[1,0,0]
	v_pk_fma_f16 v8, v13, v9, v8 op_sel:[1,0,0] neg_lo:[0,0,1] neg_hi:[0,0,1]
	v_pk_add_f16 v9, v10, v11 op_sel:[0,1] op_sel_hi:[1,0]
	v_pk_add_f16 v10, v10, v11 op_sel:[0,1] op_sel_hi:[1,0] neg_lo:[0,1] neg_hi:[0,1]
	v_pk_add_f16 v12, v12, v11 op_sel:[0,1] op_sel_hi:[1,0] neg_lo:[0,1] neg_hi:[0,1]
	;; [unrolled: 1-line block ×3, first 2 shown]
	v_bfi_b32 v9, 0xffff, v9, v10
	v_bfi_b32 v8, 0xffff, v12, v8
	ds_write_b32 v0, v9 offset:416
	ds_write_b32 v4, v8 offset:2080
	ds_read_b32 v8, v0 offset:624
	ds_read_b32 v9, v4 offset:1872
	s_waitcnt lgkmcnt(0)
	v_pk_add_f16 v10, v8, v9 neg_lo:[0,1] neg_hi:[0,1]
	v_pk_add_f16 v8, v8, v9
	v_bfi_b32 v9, 0xffff, v10, v8
	v_bfi_b32 v8, 0xffff, v8, v10
	v_pk_mul_f16 v9, v9, 0.5 op_sel_hi:[1,0]
	v_pk_mul_f16 v11, v8, 0.5 op_sel_hi:[1,0]
	s_waitcnt vmcnt(2)
	v_pk_mul_f16 v10, v14, v9 op_sel:[1,0]
	v_pk_mul_f16 v9, v14, v9 op_sel_hi:[0,1]
	v_pk_fma_f16 v8, v8, 0.5, v10 op_sel_hi:[1,0,1]
	v_sub_f16_sdwa v12, v10, v11 dst_sel:DWORD dst_unused:UNUSED_PAD src0_sel:WORD_1 src1_sel:WORD_1
	v_sub_f16_e32 v10, v11, v10
	v_pk_add_f16 v13, v8, v9 op_sel:[0,1] op_sel_hi:[1,0]
	v_pk_add_f16 v8, v8, v9 op_sel:[0,1] op_sel_hi:[1,0] neg_lo:[0,1] neg_hi:[0,1]
	v_sub_f16_e32 v11, v12, v9
	v_sub_f16_sdwa v9, v10, v9 dst_sel:DWORD dst_unused:UNUSED_PAD src0_sel:DWORD src1_sel:WORD_1
	v_bfi_b32 v8, 0xffff, v13, v8
	ds_write_b16 v4, v11 offset:1874
	ds_write_b32 v0, v8 offset:624
	ds_write_b16 v4, v9 offset:1872
	ds_read_b32 v8, v0 offset:832
	ds_read_b32 v9, v4 offset:1664
	s_waitcnt lgkmcnt(0)
	v_pk_add_f16 v10, v8, v9 neg_lo:[0,1] neg_hi:[0,1]
	v_pk_add_f16 v8, v8, v9
	v_bfi_b32 v9, 0xffff, v10, v8
	v_bfi_b32 v8, 0xffff, v8, v10
	v_pk_mul_f16 v9, v9, 0.5 op_sel_hi:[1,0]
	v_pk_mul_f16 v8, v8, 0.5 op_sel_hi:[1,0]
	s_waitcnt vmcnt(1)
	v_pk_mul_f16 v11, v15, v9 op_sel_hi:[0,1]
	v_pk_fma_f16 v10, v15, v9, v8 op_sel:[1,0,0]
	v_pk_fma_f16 v12, v15, v9, v8 op_sel:[1,0,0] neg_lo:[1,0,0] neg_hi:[1,0,0]
	v_pk_fma_f16 v8, v15, v9, v8 op_sel:[1,0,0] neg_lo:[0,0,1] neg_hi:[0,0,1]
	v_pk_add_f16 v9, v10, v11 op_sel:[0,1] op_sel_hi:[1,0]
	v_pk_add_f16 v10, v10, v11 op_sel:[0,1] op_sel_hi:[1,0] neg_lo:[0,1] neg_hi:[0,1]
	v_pk_add_f16 v12, v12, v11 op_sel:[0,1] op_sel_hi:[1,0] neg_lo:[0,1] neg_hi:[0,1]
	;; [unrolled: 1-line block ×3, first 2 shown]
	v_bfi_b32 v9, 0xffff, v9, v10
	v_bfi_b32 v8, 0xffff, v12, v8
	ds_write_b32 v0, v9 offset:832
	ds_write_b32 v4, v8 offset:1664
	ds_read_b32 v8, v0 offset:1040
	ds_read_b32 v9, v4 offset:1456
	s_waitcnt lgkmcnt(0)
	v_pk_add_f16 v10, v8, v9 neg_lo:[0,1] neg_hi:[0,1]
	v_pk_add_f16 v8, v8, v9
	v_bfi_b32 v9, 0xffff, v10, v8
	v_bfi_b32 v8, 0xffff, v8, v10
	v_pk_mul_f16 v9, v9, 0.5 op_sel_hi:[1,0]
	v_pk_mul_f16 v8, v8, 0.5 op_sel_hi:[1,0]
	s_waitcnt vmcnt(0)
	v_pk_mul_f16 v11, v7, v9 op_sel_hi:[0,1]
	v_pk_fma_f16 v10, v7, v9, v8 op_sel:[1,0,0]
	v_pk_fma_f16 v12, v7, v9, v8 op_sel:[1,0,0] neg_lo:[1,0,0] neg_hi:[1,0,0]
	v_pk_fma_f16 v7, v7, v9, v8 op_sel:[1,0,0] neg_lo:[0,0,1] neg_hi:[0,0,1]
	v_pk_add_f16 v8, v10, v11 op_sel:[0,1] op_sel_hi:[1,0]
	v_pk_add_f16 v9, v10, v11 op_sel:[0,1] op_sel_hi:[1,0] neg_lo:[0,1] neg_hi:[0,1]
	v_pk_add_f16 v10, v12, v11 op_sel:[0,1] op_sel_hi:[1,0] neg_lo:[0,1] neg_hi:[0,1]
	v_pk_add_f16 v7, v7, v11 op_sel:[0,1] op_sel_hi:[1,0] neg_lo:[0,1] neg_hi:[0,1]
	v_bfi_b32 v8, 0xffff, v8, v9
	v_bfi_b32 v7, 0xffff, v10, v7
	ds_write_b32 v0, v8 offset:1040
	ds_write_b32 v4, v7 offset:1456
	s_waitcnt lgkmcnt(0)
	s_barrier
	buffer_gl0_inv
	s_and_saveexec_b32 s0, vcc_lo
	s_cbranch_execz .LBB0_22
; %bb.20:
	v_mul_lo_u32 v0, s3, v5
	v_mul_lo_u32 v7, s2, v6
	v_mad_u64_u32 v[5:6], null, s2, v5, 0
	v_lshl_add_u32 v21, v3, 2, 0
	v_mov_b32_e32 v4, 0
	v_add_nc_u32_e32 v9, 0x68, v3
	ds_read2_b32 v[11:12], v21 offset1:52
	v_add3_u32 v6, v6, v7, v0
	v_lshlrev_b64 v[0:1], 2, v[1:2]
	v_add_nc_u32_e32 v7, 52, v3
	v_mov_b32_e32 v8, v4
	ds_read2_b32 v[15:16], v21 offset0:104 offset1:156
	v_lshlrev_b64 v[5:6], 2, v[5:6]
	v_lshlrev_b64 v[13:14], 2, v[3:4]
	v_mov_b32_e32 v10, v4
	v_mov_b32_e32 v18, v4
	v_add_co_u32 v2, vcc_lo, s10, v5
	v_add_co_ci_u32_e32 v17, vcc_lo, s11, v6, vcc_lo
	v_lshlrev_b64 v[5:6], 2, v[7:8]
	v_add_co_u32 v0, vcc_lo, v2, v0
	v_add_co_ci_u32_e32 v1, vcc_lo, v17, v1, vcc_lo
	v_add_nc_u32_e32 v2, 0x200, v21
	v_lshlrev_b64 v[7:8], 2, v[9:10]
	v_add_co_u32 v9, vcc_lo, v0, v13
	v_add_co_ci_u32_e32 v10, vcc_lo, v1, v14, vcc_lo
	v_add_co_u32 v5, vcc_lo, v0, v5
	v_add_nc_u32_e32 v13, 0x9c, v3
	v_mov_b32_e32 v14, v4
	ds_read2_b32 v[19:20], v2 offset0:80 offset1:132
	v_add_co_ci_u32_e32 v6, vcc_lo, v1, v6, vcc_lo
	v_add_co_u32 v7, vcc_lo, v0, v7
	v_add_nc_u32_e32 v17, 0xd0, v3
	v_add_co_ci_u32_e32 v8, vcc_lo, v1, v8, vcc_lo
	v_lshlrev_b64 v[13:14], 2, v[13:14]
	s_waitcnt lgkmcnt(2)
	global_store_dword v[9:10], v11, off
	global_store_dword v[5:6], v12, off
	s_waitcnt lgkmcnt(1)
	global_store_dword v[7:8], v15, off
	v_lshlrev_b64 v[5:6], 2, v[17:18]
	v_add_nc_u32_e32 v2, 0x400, v21
	v_add_nc_u32_e32 v9, 0x104, v3
	v_mov_b32_e32 v10, v4
	v_add_co_u32 v7, vcc_lo, v0, v13
	v_add_co_ci_u32_e32 v8, vcc_lo, v1, v14, vcc_lo
	v_add_co_u32 v5, vcc_lo, v0, v5
	v_add_co_ci_u32_e32 v6, vcc_lo, v1, v6, vcc_lo
	v_add_nc_u32_e32 v11, 0x138, v3
	v_mov_b32_e32 v12, v4
	global_store_dword v[7:8], v16, off
	s_waitcnt lgkmcnt(0)
	global_store_dword v[5:6], v19, off
	ds_read2_b32 v[7:8], v2 offset0:56 offset1:108
	v_lshlrev_b64 v[5:6], 2, v[9:10]
	v_add_nc_u32_e32 v13, 0x1a0, v3
	v_lshlrev_b64 v[9:10], 2, v[11:12]
	v_add_nc_u32_e32 v11, 0x16c, v3
	v_mov_b32_e32 v14, v4
	v_add_nc_u32_e32 v15, 0x23c, v3
	v_add_co_u32 v5, vcc_lo, v0, v5
	v_lshlrev_b64 v[11:12], 2, v[11:12]
	v_add_co_ci_u32_e32 v6, vcc_lo, v1, v6, vcc_lo
	v_add_co_u32 v9, vcc_lo, v0, v9
	v_add_co_ci_u32_e32 v10, vcc_lo, v1, v10, vcc_lo
	v_add_co_u32 v11, vcc_lo, v0, v11
	v_add_co_ci_u32_e32 v12, vcc_lo, v1, v12, vcc_lo
	global_store_dword v[5:6], v20, off
	s_waitcnt lgkmcnt(0)
	global_store_dword v[9:10], v7, off
	global_store_dword v[11:12], v8, off
	v_add_nc_u32_e32 v9, 0x1d4, v3
	v_mov_b32_e32 v10, v4
	ds_read2_b32 v[5:6], v2 offset0:160 offset1:212
	v_lshlrev_b64 v[7:8], 2, v[13:14]
	v_add_nc_u32_e32 v2, 0x800, v21
	v_add_nc_u32_e32 v11, 0x208, v3
	v_mov_b32_e32 v12, v4
	v_lshlrev_b64 v[9:10], 2, v[9:10]
	v_mov_b32_e32 v16, v4
	ds_read2_b32 v[13:14], v2 offset0:8 offset1:60
	v_add_co_u32 v7, vcc_lo, v0, v7
	v_lshlrev_b64 v[11:12], 2, v[11:12]
	v_add_co_ci_u32_e32 v8, vcc_lo, v1, v8, vcc_lo
	v_add_co_u32 v9, vcc_lo, v0, v9
	v_lshlrev_b64 v[15:16], 2, v[15:16]
	v_add_co_ci_u32_e32 v10, vcc_lo, v1, v10, vcc_lo
	v_add_co_u32 v11, vcc_lo, v0, v11
	v_add_co_ci_u32_e32 v12, vcc_lo, v1, v12, vcc_lo
	v_add_co_u32 v15, vcc_lo, v0, v15
	v_add_co_ci_u32_e32 v16, vcc_lo, v1, v16, vcc_lo
	v_cmp_eq_u32_e32 vcc_lo, 51, v3
	s_waitcnt lgkmcnt(1)
	global_store_dword v[7:8], v5, off
	global_store_dword v[9:10], v6, off
	s_waitcnt lgkmcnt(0)
	global_store_dword v[11:12], v13, off
	global_store_dword v[15:16], v14, off
	s_and_b32 exec_lo, exec_lo, vcc_lo
	s_cbranch_execz .LBB0_22
; %bb.21:
	ds_read_b32 v2, v4 offset:2496
	v_add_co_u32 v0, vcc_lo, 0x800, v0
	v_add_co_ci_u32_e32 v1, vcc_lo, 0, v1, vcc_lo
	s_waitcnt lgkmcnt(0)
	global_store_dword v[0:1], v2, off offset:448
.LBB0_22:
	s_endpgm
	.section	.rodata,"a",@progbits
	.p2align	6, 0x0
	.amdhsa_kernel fft_rtc_back_len624_factors_13_4_6_2_wgs_52_tpt_52_half_op_CI_CI_unitstride_sbrr_R2C_dirReg
		.amdhsa_group_segment_fixed_size 0
		.amdhsa_private_segment_fixed_size 0
		.amdhsa_kernarg_size 104
		.amdhsa_user_sgpr_count 6
		.amdhsa_user_sgpr_private_segment_buffer 1
		.amdhsa_user_sgpr_dispatch_ptr 0
		.amdhsa_user_sgpr_queue_ptr 0
		.amdhsa_user_sgpr_kernarg_segment_ptr 1
		.amdhsa_user_sgpr_dispatch_id 0
		.amdhsa_user_sgpr_flat_scratch_init 0
		.amdhsa_user_sgpr_private_segment_size 0
		.amdhsa_wavefront_size32 1
		.amdhsa_uses_dynamic_stack 0
		.amdhsa_system_sgpr_private_segment_wavefront_offset 0
		.amdhsa_system_sgpr_workgroup_id_x 1
		.amdhsa_system_sgpr_workgroup_id_y 0
		.amdhsa_system_sgpr_workgroup_id_z 0
		.amdhsa_system_sgpr_workgroup_info 0
		.amdhsa_system_vgpr_workitem_id 0
		.amdhsa_next_free_vgpr 85
		.amdhsa_next_free_sgpr 27
		.amdhsa_reserve_vcc 1
		.amdhsa_reserve_flat_scratch 0
		.amdhsa_float_round_mode_32 0
		.amdhsa_float_round_mode_16_64 0
		.amdhsa_float_denorm_mode_32 3
		.amdhsa_float_denorm_mode_16_64 3
		.amdhsa_dx10_clamp 1
		.amdhsa_ieee_mode 1
		.amdhsa_fp16_overflow 0
		.amdhsa_workgroup_processor_mode 1
		.amdhsa_memory_ordered 1
		.amdhsa_forward_progress 0
		.amdhsa_shared_vgpr_count 0
		.amdhsa_exception_fp_ieee_invalid_op 0
		.amdhsa_exception_fp_denorm_src 0
		.amdhsa_exception_fp_ieee_div_zero 0
		.amdhsa_exception_fp_ieee_overflow 0
		.amdhsa_exception_fp_ieee_underflow 0
		.amdhsa_exception_fp_ieee_inexact 0
		.amdhsa_exception_int_div_zero 0
	.end_amdhsa_kernel
	.text
.Lfunc_end0:
	.size	fft_rtc_back_len624_factors_13_4_6_2_wgs_52_tpt_52_half_op_CI_CI_unitstride_sbrr_R2C_dirReg, .Lfunc_end0-fft_rtc_back_len624_factors_13_4_6_2_wgs_52_tpt_52_half_op_CI_CI_unitstride_sbrr_R2C_dirReg
                                        ; -- End function
	.section	.AMDGPU.csdata,"",@progbits
; Kernel info:
; codeLenInByte = 9516
; NumSgprs: 29
; NumVgprs: 85
; ScratchSize: 0
; MemoryBound: 0
; FloatMode: 240
; IeeeMode: 1
; LDSByteSize: 0 bytes/workgroup (compile time only)
; SGPRBlocks: 3
; VGPRBlocks: 10
; NumSGPRsForWavesPerEU: 29
; NumVGPRsForWavesPerEU: 85
; Occupancy: 10
; WaveLimiterHint : 1
; COMPUTE_PGM_RSRC2:SCRATCH_EN: 0
; COMPUTE_PGM_RSRC2:USER_SGPR: 6
; COMPUTE_PGM_RSRC2:TRAP_HANDLER: 0
; COMPUTE_PGM_RSRC2:TGID_X_EN: 1
; COMPUTE_PGM_RSRC2:TGID_Y_EN: 0
; COMPUTE_PGM_RSRC2:TGID_Z_EN: 0
; COMPUTE_PGM_RSRC2:TIDIG_COMP_CNT: 0
	.text
	.p2alignl 6, 3214868480
	.fill 48, 4, 3214868480
	.type	__hip_cuid_973c22ab20897d25,@object ; @__hip_cuid_973c22ab20897d25
	.section	.bss,"aw",@nobits
	.globl	__hip_cuid_973c22ab20897d25
__hip_cuid_973c22ab20897d25:
	.byte	0                               ; 0x0
	.size	__hip_cuid_973c22ab20897d25, 1

	.ident	"AMD clang version 19.0.0git (https://github.com/RadeonOpenCompute/llvm-project roc-6.4.0 25133 c7fe45cf4b819c5991fe208aaa96edf142730f1d)"
	.section	".note.GNU-stack","",@progbits
	.addrsig
	.addrsig_sym __hip_cuid_973c22ab20897d25
	.amdgpu_metadata
---
amdhsa.kernels:
  - .args:
      - .actual_access:  read_only
        .address_space:  global
        .offset:         0
        .size:           8
        .value_kind:     global_buffer
      - .offset:         8
        .size:           8
        .value_kind:     by_value
      - .actual_access:  read_only
        .address_space:  global
        .offset:         16
        .size:           8
        .value_kind:     global_buffer
      - .actual_access:  read_only
        .address_space:  global
        .offset:         24
        .size:           8
        .value_kind:     global_buffer
      - .actual_access:  read_only
        .address_space:  global
        .offset:         32
        .size:           8
        .value_kind:     global_buffer
      - .offset:         40
        .size:           8
        .value_kind:     by_value
      - .actual_access:  read_only
        .address_space:  global
        .offset:         48
        .size:           8
        .value_kind:     global_buffer
      - .actual_access:  read_only
        .address_space:  global
        .offset:         56
        .size:           8
        .value_kind:     global_buffer
      - .offset:         64
        .size:           4
        .value_kind:     by_value
      - .actual_access:  read_only
        .address_space:  global
        .offset:         72
        .size:           8
        .value_kind:     global_buffer
      - .actual_access:  read_only
        .address_space:  global
        .offset:         80
        .size:           8
        .value_kind:     global_buffer
      - .actual_access:  read_only
        .address_space:  global
        .offset:         88
        .size:           8
        .value_kind:     global_buffer
      - .actual_access:  write_only
        .address_space:  global
        .offset:         96
        .size:           8
        .value_kind:     global_buffer
    .group_segment_fixed_size: 0
    .kernarg_segment_align: 8
    .kernarg_segment_size: 104
    .language:       OpenCL C
    .language_version:
      - 2
      - 0
    .max_flat_workgroup_size: 52
    .name:           fft_rtc_back_len624_factors_13_4_6_2_wgs_52_tpt_52_half_op_CI_CI_unitstride_sbrr_R2C_dirReg
    .private_segment_fixed_size: 0
    .sgpr_count:     29
    .sgpr_spill_count: 0
    .symbol:         fft_rtc_back_len624_factors_13_4_6_2_wgs_52_tpt_52_half_op_CI_CI_unitstride_sbrr_R2C_dirReg.kd
    .uniform_work_group_size: 1
    .uses_dynamic_stack: false
    .vgpr_count:     85
    .vgpr_spill_count: 0
    .wavefront_size: 32
    .workgroup_processor_mode: 1
amdhsa.target:   amdgcn-amd-amdhsa--gfx1030
amdhsa.version:
  - 1
  - 2
...

	.end_amdgpu_metadata
